;; amdgpu-corpus repo=ROCm/bitsandbytes kind=harvested arch=n/a opt=n/a
	.text
	.amdgcn_target "amdgcn-amd-amdhsa--gfx1100"
	.amdhsa_code_object_version 6
	.protected	_Z18kQuantizeBlockwiseIfLi128ELi2ELi0ELi2EEvPfPT_S0_PhS0_ii ; -- Begin function _Z18kQuantizeBlockwiseIfLi128ELi2ELi0ELi2EEvPfPT_S0_PhS0_ii
	.globl	_Z18kQuantizeBlockwiseIfLi128ELi2ELi0ELi2EEvPfPT_S0_PhS0_ii
	.p2align	8
	.type	_Z18kQuantizeBlockwiseIfLi128ELi2ELi0ELi2EEvPfPT_S0_PhS0_ii,@function
_Z18kQuantizeBlockwiseIfLi128ELi2ELi0ELi2EEvPfPT_S0_PhS0_ii: ; @_Z18kQuantizeBlockwiseIfLi128ELi2ELi0ELi2EEvPfPT_S0_PhS0_ii
; %bb.0:
	s_load_b32 s2, s[0:1], 0x30
	s_lshl_b32 s12, s15, 7
	s_waitcnt lgkmcnt(0)
	s_lshl_b32 s14, s2, 7
	s_delay_alu instid0(SALU_CYCLE_1)
	s_cmp_ge_i32 s12, s14
	s_cbranch_scc1 .LBB133_71
; %bb.1:
	s_load_b64 s[2:3], s[0:1], 0x8
	v_lshlrev_b32_e32 v1, 1, v0
	v_mbcnt_lo_u32_b32 v2, -1, 0
	s_clause 0x1
	s_load_b128 s[8:11], s[0:1], 0x10
	s_load_b32 s4, s[0:1], 0x2c
	v_dual_mov_b32 v29, 0 :: v_dual_and_b32 v4, 0x3e0, v0
	v_and_b32_e32 v1, 0x7c0, v1
	v_lshlrev_b32_e32 v3, 2, v2
	v_cmp_gt_u32_e32 vcc_lo, 30, v2
	v_lshrrev_b32_e32 v21, 3, v0
	v_or_b32_e32 v5, v2, v4
	v_lshlrev_b32_e32 v8, 2, v1
	v_or_b32_e32 v6, v2, v1
	v_cndmask_b32_e64 v13, 0, 1, vcc_lo
	v_lshrrev_b32_e32 v1, 5, v1
	v_lshlrev_b32_e32 v12, 1, v5
	v_bfe_u32 v14, v5, 4, 27
	v_or_b32_e32 v7, 32, v6
	v_add_nc_u32_e32 v20, 8, v2
	v_and_b32_e32 v25, 1, v2
	s_waitcnt lgkmcnt(0)
	v_add_co_u32 v9, s0, s2, v3
	s_delay_alu instid0(VALU_DEP_1) | instskip(SKIP_1) | instid1(VALU_DEP_3)
	v_add_co_ci_u32_e64 v10, null, s3, 0, s0
	v_lshrrev_b32_e32 v11, 5, v7
	v_add_co_u32 v8, vcc_lo, v9, v8
	s_delay_alu instid0(VALU_DEP_3)
	v_add_co_ci_u32_e32 v9, vcc_lo, 0, v10, vcc_lo
	v_cmp_ne_u32_e32 vcc_lo, 31, v2
	v_add_lshl_u32 v10, v1, v6, 2
	v_lshlrev_b32_e32 v1, 1, v13
	v_add_lshl_u32 v12, v14, v12, 2
	v_add_nc_u32_e32 v14, 1, v2
	v_add_co_ci_u32_e32 v15, vcc_lo, 0, v2, vcc_lo
	v_cmp_gt_u32_e32 vcc_lo, 28, v2
	v_cmp_eq_u32_e64 s0, 0, v2
	v_add_lshl_u32 v11, v11, v7, 2
	s_delay_alu instid0(VALU_DEP_4)
	v_lshlrev_b32_e32 v13, 2, v15
	v_add_lshl_u32 v15, v1, v2, 2
	v_cndmask_b32_e64 v16, 0, 1, vcc_lo
	v_cmp_gt_u32_e32 vcc_lo, 24, v2
	v_cmp_gt_u32_e64 s1, 2, v0
	v_add_nc_u32_e32 v24, 0x250, v3
	v_add_nc_u32_e32 v25, 1, v25
	v_lshlrev_b32_e32 v17, 2, v16
	v_cndmask_b32_e64 v1, 0, 1, vcc_lo
	v_cmp_gt_u32_e32 vcc_lo, 16, v2
	v_add_nc_u32_e32 v16, 2, v2
	v_or_b32_e32 v26, 4, v3
	v_add_lshl_u32 v17, v17, v2, 2
	v_lshlrev_b32_e32 v1, 3, v1
	v_cndmask_b32_e64 v18, 0, 1, vcc_lo
	s_sub_i32 s15, s4, s12
	s_delay_alu instid0(VALU_DEP_2) | instskip(SKIP_1) | instid1(VALU_DEP_3)
	v_add_lshl_u32 v19, v1, v2, 2
	v_and_b32_e32 v1, 0x7c, v21
	v_lshlrev_b32_e32 v22, 4, v18
	v_add_nc_u32_e32 v18, 4, v2
	s_delay_alu instid0(VALU_DEP_3) | instskip(SKIP_1) | instid1(VALU_DEP_4)
	v_add_nc_u32_e32 v23, 0x250, v1
	v_add_co_u32 v1, s2, s10, v2
	v_add_lshl_u32 v21, v22, v2, 2
	v_add_nc_u32_e32 v22, 16, v2
	v_add_co_ci_u32_e64 v2, null, s11, 0, s2
	s_delay_alu instid0(VALU_DEP_4) | instskip(SKIP_1) | instid1(VALU_DEP_3)
	v_add_co_u32 v27, vcc_lo, v1, v4
	v_cmp_eq_u32_e64 s2, 0, v0
	v_add_co_ci_u32_e32 v28, vcc_lo, 0, v2, vcc_lo
	s_mov_b32 s10, 0
	s_branch .LBB133_3
.LBB133_2:                              ;   in Loop: Header=BB133_3 Depth=1
	s_or_b32 exec_lo, exec_lo, s3
	s_add_i32 s12, s12, s14
	s_sub_i32 s15, s15, s14
	s_cmp_ge_i32 s12, s14
	s_cbranch_scc1 .LBB133_71
.LBB133_3:                              ; =>This Inner Loop Header: Depth=1
	s_ashr_i32 s13, s12, 31
	s_mov_b32 s11, s10
	s_lshl_b64 s[4:5], s[12:13], 2
	v_dual_mov_b32 v2, s10 :: v_dual_mov_b32 v3, s11
	v_add_co_u32 v0, vcc_lo, v8, s4
	v_add_co_ci_u32_e32 v1, vcc_lo, s5, v9, vcc_lo
	v_mov_b32_e32 v2, 0
	s_min_i32 s16, s15, 0x80
	s_mov_b32 s3, exec_lo
	s_waitcnt lgkmcnt(0)
	s_waitcnt_vscnt null, 0x0
	s_barrier
	buffer_gl0_inv
	v_cmpx_gt_u32_e64 s16, v6
	s_cbranch_execz .LBB133_5
; %bb.4:                                ;   in Loop: Header=BB133_3 Depth=1
	global_load_b32 v2, v[0:1], off
	v_mov_b32_e32 v3, 0
.LBB133_5:                              ;   in Loop: Header=BB133_3 Depth=1
	s_or_b32 exec_lo, exec_lo, s3
	s_delay_alu instid0(SALU_CYCLE_1)
	s_mov_b32 s3, exec_lo
	v_cmpx_gt_u32_e64 s16, v7
	s_cbranch_execz .LBB133_7
; %bb.6:                                ;   in Loop: Header=BB133_3 Depth=1
	global_load_b32 v3, v[0:1], off offset:128
.LBB133_7:                              ;   in Loop: Header=BB133_3 Depth=1
	s_or_b32 exec_lo, exec_lo, s3
	s_waitcnt vmcnt(0)
	ds_store_b32 v10, v2
	ds_store_b32 v11, v3
	; wave barrier
	ds_load_2addr_b32 v[0:1], v12 offset1:1
	v_sub_nc_u32_e64 v30, s16, v4 clamp
	s_delay_alu instid0(VALU_DEP_1)
	v_cmp_lt_u32_e64 s6, v22, v30
	s_waitcnt lgkmcnt(0)
	v_max3_f32 v2, |v0|, 0xff7fffff, |v1|
	ds_bpermute_b32 v3, v13, v2
	s_waitcnt lgkmcnt(0)
	v_cmp_lt_f32_e32 vcc_lo, v2, v3
	v_cndmask_b32_e32 v3, v2, v3, vcc_lo
	v_cmp_lt_u32_e32 vcc_lo, v14, v30
	s_delay_alu instid0(VALU_DEP_2) | instskip(SKIP_3) | instid1(VALU_DEP_1)
	v_cndmask_b32_e32 v3, v2, v3, vcc_lo
	ds_bpermute_b32 v31, v15, v3
	s_waitcnt lgkmcnt(0)
	v_cmp_lt_f32_e64 s3, v3, v31
	v_cndmask_b32_e64 v31, v3, v31, s3
	v_cmp_lt_u32_e64 s3, v16, v30
	s_delay_alu instid0(VALU_DEP_1) | instskip(SKIP_4) | instid1(VALU_DEP_1)
	v_cndmask_b32_e64 v3, v3, v31, s3
	s_or_b32 s3, vcc_lo, s3
	ds_bpermute_b32 v31, v17, v3
	s_waitcnt lgkmcnt(0)
	v_cmp_lt_f32_e64 s4, v3, v31
	v_cndmask_b32_e64 v31, v3, v31, s4
	v_cmp_lt_u32_e64 s4, v18, v30
	s_delay_alu instid0(VALU_DEP_1) | instskip(SKIP_4) | instid1(VALU_DEP_1)
	v_cndmask_b32_e64 v3, v3, v31, s4
	s_or_b32 s3, s4, s3
	ds_bpermute_b32 v31, v19, v3
	s_waitcnt lgkmcnt(0)
	v_cmp_lt_f32_e64 s5, v3, v31
	v_cndmask_b32_e64 v31, v3, v31, s5
	v_cmp_lt_u32_e64 s5, v20, v30
	s_delay_alu instid0(VALU_DEP_1) | instskip(SKIP_4) | instid1(VALU_DEP_1)
	v_cndmask_b32_e64 v3, v3, v31, s5
	s_or_b32 s3, s5, s3
	ds_bpermute_b32 v31, v21, v3
	s_waitcnt lgkmcnt(0)
	v_cmp_lt_f32_e64 s7, v3, v31
	s_and_b32 vcc_lo, s6, s7
	v_cndmask_b32_e32 v3, v3, v31, vcc_lo
	s_or_b32 vcc_lo, s6, s3
	s_delay_alu instid0(VALU_DEP_1)
	v_cndmask_b32_e32 v2, v2, v3, vcc_lo
	s_and_saveexec_b32 s3, s0
	s_cbranch_execz .LBB133_9
; %bb.8:                                ;   in Loop: Header=BB133_3 Depth=1
	ds_store_b32 v23, v2
.LBB133_9:                              ;   in Loop: Header=BB133_3 Depth=1
	s_or_b32 exec_lo, exec_lo, s3
	s_waitcnt lgkmcnt(0)
	s_barrier
	buffer_gl0_inv
	s_and_saveexec_b32 s4, s1
	s_cbranch_execz .LBB133_11
; %bb.10:                               ;   in Loop: Header=BB133_3 Depth=1
	ds_load_b32 v2, v24
	s_add_i32 s3, s16, 31
	s_delay_alu instid0(SALU_CYCLE_1) | instskip(NEXT) | instid1(SALU_CYCLE_1)
	s_lshr_b32 s3, s3, 5
	v_cmp_gt_u32_e32 vcc_lo, s3, v25
	s_waitcnt lgkmcnt(0)
	ds_bpermute_b32 v3, v26, v2
	s_waitcnt lgkmcnt(0)
	v_cmp_lt_f32_e64 s3, v2, v3
	s_delay_alu instid0(VALU_DEP_1)
	s_and_b32 vcc_lo, vcc_lo, s3
	v_cndmask_b32_e32 v2, v2, v3, vcc_lo
.LBB133_11:                             ;   in Loop: Header=BB133_3 Depth=1
	s_or_b32 exec_lo, exec_lo, s4
	s_and_saveexec_b32 s3, s2
	s_cbranch_execz .LBB133_13
; %bb.12:                               ;   in Loop: Header=BB133_3 Depth=1
	s_delay_alu instid0(VALU_DEP_1) | instskip(SKIP_2) | instid1(VALU_DEP_2)
	v_div_scale_f32 v3, null, v2, v2, 1.0
	v_div_scale_f32 v32, vcc_lo, 1.0, v2, 1.0
	s_ashr_i32 s4, s12, 7
	v_rcp_f32_e32 v30, v3
	s_ashr_i32 s5, s4, 31
	s_delay_alu instid0(SALU_CYCLE_1) | instskip(NEXT) | instid1(SALU_CYCLE_1)
	s_lshl_b64 s[4:5], s[4:5], 2
	s_add_u32 s4, s8, s4
	s_addc_u32 s5, s9, s5
	global_store_b32 v29, v2, s[4:5]
	v_fma_f32 v31, -v3, v30, 1.0
	s_delay_alu instid0(VALU_DEP_1) | instskip(NEXT) | instid1(VALU_DEP_1)
	v_fmac_f32_e32 v30, v31, v30
	v_mul_f32_e32 v31, v32, v30
	s_delay_alu instid0(VALU_DEP_1) | instskip(NEXT) | instid1(VALU_DEP_1)
	v_fma_f32 v33, -v3, v31, v32
	v_fmac_f32_e32 v31, v33, v30
	s_delay_alu instid0(VALU_DEP_1) | instskip(NEXT) | instid1(VALU_DEP_1)
	v_fma_f32 v3, -v3, v31, v32
	v_div_fmas_f32 v3, v3, v30, v31
	s_delay_alu instid0(VALU_DEP_1)
	v_div_fixup_f32 v3, v3, v2, 1.0
	ds_store_b32 v29, v3 offset:600
.LBB133_13:                             ;   in Loop: Header=BB133_3 Depth=1
	s_or_b32 exec_lo, exec_lo, s3
	s_waitcnt lgkmcnt(0)
	s_waitcnt_vscnt null, 0x0
	s_barrier
	buffer_gl0_inv
	ds_load_b32 v2, v29 offset:600
	s_mov_b32 s3, exec_lo
	s_waitcnt lgkmcnt(0)
	v_mul_f32_e32 v3, v0, v2
                                        ; implicit-def: $vgpr0
	s_delay_alu instid0(VALU_DEP_1)
	v_cmpx_nlt_f32_e32 0x3d22faff, v3
	s_xor_b32 s3, exec_lo, s3
	s_cbranch_execz .LBB133_27
; %bb.14:                               ;   in Loop: Header=BB133_3 Depth=1
	s_mov_b32 s4, exec_lo
                                        ; implicit-def: $vgpr0
	v_cmpx_nlt_f32_e32 0xbeadea76, v3
	s_xor_b32 s4, exec_lo, s4
	s_cbranch_execz .LBB133_20
; %bb.15:                               ;   in Loop: Header=BB133_3 Depth=1
	s_mov_b32 s5, exec_lo
                                        ; implicit-def: $vgpr0
	v_cmpx_nlt_f32_e32 0xbf1c5270, v3
	s_xor_b32 s5, exec_lo, s5
; %bb.16:                               ;   in Loop: Header=BB133_3 Depth=1
	v_cmp_lt_f32_e32 vcc_lo, 0xbf591cd9, v3
                                        ; implicit-def: $vgpr3
	v_cndmask_b32_e64 v0, 0, 1, vcc_lo
; %bb.17:                               ;   in Loop: Header=BB133_3 Depth=1
	s_and_not1_saveexec_b32 s5, s5
; %bb.18:                               ;   in Loop: Header=BB133_3 Depth=1
	v_cmp_lt_f32_e32 vcc_lo, 0xbeeb8480, v3
	v_cndmask_b32_e64 v0, 2, 3, vcc_lo
; %bb.19:                               ;   in Loop: Header=BB133_3 Depth=1
	s_or_b32 exec_lo, exec_lo, s5
                                        ; implicit-def: $vgpr3
.LBB133_20:                             ;   in Loop: Header=BB133_3 Depth=1
	s_and_not1_saveexec_b32 s4, s4
	s_cbranch_execz .LBB133_26
; %bb.21:                               ;   in Loop: Header=BB133_3 Depth=1
	s_mov_b32 s5, exec_lo
                                        ; implicit-def: $vgpr0
	v_cmpx_nlt_f32_e32 0xbe0d38bc, v3
	s_xor_b32 s5, exec_lo, s5
; %bb.22:                               ;   in Loop: Header=BB133_3 Depth=1
	v_cmp_lt_f32_e32 vcc_lo, 0xbe703cec, v3
                                        ; implicit-def: $vgpr3
	v_cndmask_b32_e64 v0, 4, 5, vcc_lo
; %bb.23:                               ;   in Loop: Header=BB133_3 Depth=1
	s_and_not1_saveexec_b32 s5, s5
; %bb.24:                               ;   in Loop: Header=BB133_3 Depth=1
	v_cmp_lt_f32_e32 vcc_lo, 0xbd3a7871, v3
	v_cndmask_b32_e64 v0, 6, 7, vcc_lo
; %bb.25:                               ;   in Loop: Header=BB133_3 Depth=1
	s_or_b32 exec_lo, exec_lo, s5
.LBB133_26:                             ;   in Loop: Header=BB133_3 Depth=1
	s_delay_alu instid0(SALU_CYCLE_1)
	s_or_b32 exec_lo, exec_lo, s4
                                        ; implicit-def: $vgpr3
.LBB133_27:                             ;   in Loop: Header=BB133_3 Depth=1
	s_and_not1_saveexec_b32 s3, s3
	s_cbranch_execz .LBB133_41
; %bb.28:                               ;   in Loop: Header=BB133_3 Depth=1
	s_mov_b32 s4, exec_lo
                                        ; implicit-def: $vgpr0
	v_cmpx_nlt_f32_e32 0x3ec753f9, v3
	s_xor_b32 s4, exec_lo, s4
	s_cbranch_execz .LBB133_34
; %bb.29:                               ;   in Loop: Header=BB133_3 Depth=1
	s_mov_b32 s5, exec_lo
                                        ; implicit-def: $vgpr0
	v_cmpx_nlt_f32_e32 0x3e5067e0, v3
	s_xor_b32 s5, exec_lo, s5
; %bb.30:                               ;   in Loop: Header=BB133_3 Depth=1
	v_cmp_lt_f32_e32 vcc_lo, 0x3df64863, v3
                                        ; implicit-def: $vgpr3
	v_cndmask_b32_e64 v0, 8, 9, vcc_lo
; %bb.31:                               ;   in Loop: Header=BB133_3 Depth=1
	s_and_not1_saveexec_b32 s5, s5
; %bb.32:                               ;   in Loop: Header=BB133_3 Depth=1
	v_cmp_lt_f32_e32 vcc_lo, 0x3e9582d4, v3
	v_cndmask_b32_e64 v0, 10, 11, vcc_lo
; %bb.33:                               ;   in Loop: Header=BB133_3 Depth=1
	s_or_b32 exec_lo, exec_lo, s5
                                        ; implicit-def: $vgpr3
.LBB133_34:                             ;   in Loop: Header=BB133_3 Depth=1
	s_and_not1_saveexec_b32 s4, s4
	s_cbranch_execz .LBB133_40
; %bb.35:                               ;   in Loop: Header=BB133_3 Depth=1
	s_mov_b32 s5, exec_lo
                                        ; implicit-def: $vgpr0
	v_cmpx_nlt_f32_e32 0x3f248daf, v3
	s_xor_b32 s5, exec_lo, s5
; %bb.36:                               ;   in Loop: Header=BB133_3 Depth=1
	v_cmp_lt_f32_e32 vcc_lo, 0x3f006d03, v3
                                        ; implicit-def: $vgpr3
	v_cndmask_b32_e64 v0, 12, 13, vcc_lo
; %bb.37:                               ;   in Loop: Header=BB133_3 Depth=1
	s_and_not1_saveexec_b32 s5, s5
; %bb.38:                               ;   in Loop: Header=BB133_3 Depth=1
	v_cmp_lt_f32_e32 vcc_lo, 0x3f5c89d9, v3
	v_cndmask_b32_e64 v0, 14, 15, vcc_lo
; %bb.39:                               ;   in Loop: Header=BB133_3 Depth=1
	s_or_b32 exec_lo, exec_lo, s5
.LBB133_40:                             ;   in Loop: Header=BB133_3 Depth=1
	s_delay_alu instid0(SALU_CYCLE_1)
	s_or_b32 exec_lo, exec_lo, s4
.LBB133_41:                             ;   in Loop: Header=BB133_3 Depth=1
	s_delay_alu instid0(SALU_CYCLE_1) | instskip(SKIP_2) | instid1(VALU_DEP_1)
	s_or_b32 exec_lo, exec_lo, s3
	v_mul_f32_e32 v2, v1, v2
	s_mov_b32 s3, exec_lo
                                        ; implicit-def: $vgpr1
	v_cmpx_nlt_f32_e32 0x3d22faff, v2
	s_xor_b32 s3, exec_lo, s3
	s_cbranch_execz .LBB133_55
; %bb.42:                               ;   in Loop: Header=BB133_3 Depth=1
	s_mov_b32 s4, exec_lo
                                        ; implicit-def: $vgpr1
	v_cmpx_nlt_f32_e32 0xbeadea76, v2
	s_xor_b32 s4, exec_lo, s4
	s_cbranch_execz .LBB133_48
; %bb.43:                               ;   in Loop: Header=BB133_3 Depth=1
	s_mov_b32 s5, exec_lo
                                        ; implicit-def: $vgpr1
	v_cmpx_nlt_f32_e32 0xbf1c5270, v2
	s_xor_b32 s5, exec_lo, s5
; %bb.44:                               ;   in Loop: Header=BB133_3 Depth=1
	v_cmp_lt_f32_e32 vcc_lo, 0xbf591cd9, v2
                                        ; implicit-def: $vgpr2
	v_cndmask_b32_e64 v1, 0, 1, vcc_lo
; %bb.45:                               ;   in Loop: Header=BB133_3 Depth=1
	s_and_not1_saveexec_b32 s5, s5
; %bb.46:                               ;   in Loop: Header=BB133_3 Depth=1
	v_cmp_lt_f32_e32 vcc_lo, 0xbeeb8480, v2
	v_cndmask_b32_e64 v1, 2, 3, vcc_lo
; %bb.47:                               ;   in Loop: Header=BB133_3 Depth=1
	s_or_b32 exec_lo, exec_lo, s5
                                        ; implicit-def: $vgpr2
.LBB133_48:                             ;   in Loop: Header=BB133_3 Depth=1
	s_and_not1_saveexec_b32 s4, s4
	s_cbranch_execz .LBB133_54
; %bb.49:                               ;   in Loop: Header=BB133_3 Depth=1
	s_mov_b32 s5, exec_lo
                                        ; implicit-def: $vgpr1
	v_cmpx_nlt_f32_e32 0xbe0d38bc, v2
	s_xor_b32 s5, exec_lo, s5
; %bb.50:                               ;   in Loop: Header=BB133_3 Depth=1
	v_cmp_lt_f32_e32 vcc_lo, 0xbe703cec, v2
                                        ; implicit-def: $vgpr2
	v_cndmask_b32_e64 v1, 4, 5, vcc_lo
; %bb.51:                               ;   in Loop: Header=BB133_3 Depth=1
	s_and_not1_saveexec_b32 s5, s5
; %bb.52:                               ;   in Loop: Header=BB133_3 Depth=1
	v_cmp_lt_f32_e32 vcc_lo, 0xbd3a7871, v2
	v_cndmask_b32_e64 v1, 6, 7, vcc_lo
; %bb.53:                               ;   in Loop: Header=BB133_3 Depth=1
	s_or_b32 exec_lo, exec_lo, s5
.LBB133_54:                             ;   in Loop: Header=BB133_3 Depth=1
	s_delay_alu instid0(SALU_CYCLE_1)
	s_or_b32 exec_lo, exec_lo, s4
                                        ; implicit-def: $vgpr2
.LBB133_55:                             ;   in Loop: Header=BB133_3 Depth=1
	s_and_not1_saveexec_b32 s3, s3
	s_cbranch_execz .LBB133_69
; %bb.56:                               ;   in Loop: Header=BB133_3 Depth=1
	s_mov_b32 s4, exec_lo
                                        ; implicit-def: $vgpr1
	v_cmpx_nlt_f32_e32 0x3ec753f9, v2
	s_xor_b32 s4, exec_lo, s4
	s_cbranch_execz .LBB133_62
; %bb.57:                               ;   in Loop: Header=BB133_3 Depth=1
	s_mov_b32 s5, exec_lo
                                        ; implicit-def: $vgpr1
	v_cmpx_nlt_f32_e32 0x3e5067e0, v2
	s_xor_b32 s5, exec_lo, s5
; %bb.58:                               ;   in Loop: Header=BB133_3 Depth=1
	v_cmp_lt_f32_e32 vcc_lo, 0x3df64863, v2
                                        ; implicit-def: $vgpr2
	v_cndmask_b32_e64 v1, 8, 9, vcc_lo
; %bb.59:                               ;   in Loop: Header=BB133_3 Depth=1
	s_and_not1_saveexec_b32 s5, s5
; %bb.60:                               ;   in Loop: Header=BB133_3 Depth=1
	v_cmp_lt_f32_e32 vcc_lo, 0x3e9582d4, v2
	v_cndmask_b32_e64 v1, 10, 11, vcc_lo
; %bb.61:                               ;   in Loop: Header=BB133_3 Depth=1
	s_or_b32 exec_lo, exec_lo, s5
                                        ; implicit-def: $vgpr2
.LBB133_62:                             ;   in Loop: Header=BB133_3 Depth=1
	s_and_not1_saveexec_b32 s4, s4
	s_cbranch_execz .LBB133_68
; %bb.63:                               ;   in Loop: Header=BB133_3 Depth=1
	s_mov_b32 s5, exec_lo
                                        ; implicit-def: $vgpr1
	v_cmpx_nlt_f32_e32 0x3f248daf, v2
	s_xor_b32 s5, exec_lo, s5
; %bb.64:                               ;   in Loop: Header=BB133_3 Depth=1
	v_cmp_lt_f32_e32 vcc_lo, 0x3f006d03, v2
                                        ; implicit-def: $vgpr2
	v_cndmask_b32_e64 v1, 12, 13, vcc_lo
; %bb.65:                               ;   in Loop: Header=BB133_3 Depth=1
	s_and_not1_saveexec_b32 s5, s5
; %bb.66:                               ;   in Loop: Header=BB133_3 Depth=1
	v_cmp_lt_f32_e32 vcc_lo, 0x3f5c89d9, v2
	v_cndmask_b32_e64 v1, 14, 15, vcc_lo
; %bb.67:                               ;   in Loop: Header=BB133_3 Depth=1
	s_or_b32 exec_lo, exec_lo, s5
.LBB133_68:                             ;   in Loop: Header=BB133_3 Depth=1
	s_delay_alu instid0(SALU_CYCLE_1)
	s_or_b32 exec_lo, exec_lo, s4
.LBB133_69:                             ;   in Loop: Header=BB133_3 Depth=1
	s_delay_alu instid0(SALU_CYCLE_1) | instskip(SKIP_3) | instid1(SALU_CYCLE_1)
	s_or_b32 exec_lo, exec_lo, s3
	s_add_i32 s3, s16, 1
	v_lshlrev_b16 v0, 4, v0
	s_lshr_b32 s4, s3, 31
	s_add_i32 s3, s3, s4
	s_barrier
	s_ashr_i32 s3, s3, 1
	v_or_b32_e32 v0, v1, v0
	v_cmp_gt_u32_e32 vcc_lo, s3, v5
	buffer_gl0_inv
	ds_store_b8 v5, v0 offset:528
	; wave barrier
	s_and_saveexec_b32 s3, vcc_lo
	s_cbranch_execz .LBB133_2
; %bb.70:                               ;   in Loop: Header=BB133_3 Depth=1
	ds_load_u8 v2, v5 offset:528
	s_ashr_i32 s4, s12, 1
	s_delay_alu instid0(SALU_CYCLE_1)
	s_ashr_i32 s5, s4, 31
	v_add_co_u32 v0, vcc_lo, v27, s4
	v_add_co_ci_u32_e32 v1, vcc_lo, s5, v28, vcc_lo
	s_waitcnt lgkmcnt(0)
	global_store_b8 v[0:1], v2, off
	s_branch .LBB133_2
.LBB133_71:
	s_nop 0
	s_sendmsg sendmsg(MSG_DEALLOC_VGPRS)
	s_endpgm
	.section	.rodata,"a",@progbits
	.p2align	6, 0x0
	.amdhsa_kernel _Z18kQuantizeBlockwiseIfLi128ELi2ELi0ELi2EEvPfPT_S0_PhS0_ii
		.amdhsa_group_segment_fixed_size 604
		.amdhsa_private_segment_fixed_size 0
		.amdhsa_kernarg_size 304
		.amdhsa_user_sgpr_count 15
		.amdhsa_user_sgpr_dispatch_ptr 0
		.amdhsa_user_sgpr_queue_ptr 0
		.amdhsa_user_sgpr_kernarg_segment_ptr 1
		.amdhsa_user_sgpr_dispatch_id 0
		.amdhsa_user_sgpr_private_segment_size 0
		.amdhsa_wavefront_size32 1
		.amdhsa_uses_dynamic_stack 0
		.amdhsa_enable_private_segment 0
		.amdhsa_system_sgpr_workgroup_id_x 1
		.amdhsa_system_sgpr_workgroup_id_y 0
		.amdhsa_system_sgpr_workgroup_id_z 0
		.amdhsa_system_sgpr_workgroup_info 0
		.amdhsa_system_vgpr_workitem_id 0
		.amdhsa_next_free_vgpr 34
		.amdhsa_next_free_sgpr 17
		.amdhsa_reserve_vcc 1
		.amdhsa_float_round_mode_32 0
		.amdhsa_float_round_mode_16_64 0
		.amdhsa_float_denorm_mode_32 3
		.amdhsa_float_denorm_mode_16_64 3
		.amdhsa_dx10_clamp 1
		.amdhsa_ieee_mode 1
		.amdhsa_fp16_overflow 0
		.amdhsa_workgroup_processor_mode 1
		.amdhsa_memory_ordered 1
		.amdhsa_forward_progress 0
		.amdhsa_shared_vgpr_count 0
		.amdhsa_exception_fp_ieee_invalid_op 0
		.amdhsa_exception_fp_denorm_src 0
		.amdhsa_exception_fp_ieee_div_zero 0
		.amdhsa_exception_fp_ieee_overflow 0
		.amdhsa_exception_fp_ieee_underflow 0
		.amdhsa_exception_fp_ieee_inexact 0
		.amdhsa_exception_int_div_zero 0
	.end_amdhsa_kernel
	.section	.text._Z18kQuantizeBlockwiseIfLi128ELi2ELi0ELi2EEvPfPT_S0_PhS0_ii,"axG",@progbits,_Z18kQuantizeBlockwiseIfLi128ELi2ELi0ELi2EEvPfPT_S0_PhS0_ii,comdat
.Lfunc_end133:
	.size	_Z18kQuantizeBlockwiseIfLi128ELi2ELi0ELi2EEvPfPT_S0_PhS0_ii, .Lfunc_end133-_Z18kQuantizeBlockwiseIfLi128ELi2ELi0ELi2EEvPfPT_S0_PhS0_ii
                                        ; -- End function
	.section	.AMDGPU.csdata,"",@progbits
; Kernel info:
; codeLenInByte = 1964
; NumSgprs: 19
; NumVgprs: 34
; ScratchSize: 0
; MemoryBound: 0
; FloatMode: 240
; IeeeMode: 1
; LDSByteSize: 604 bytes/workgroup (compile time only)
; SGPRBlocks: 2
; VGPRBlocks: 4
; NumSGPRsForWavesPerEU: 19
; NumVGPRsForWavesPerEU: 34
; Occupancy: 16
; WaveLimiterHint : 0
; COMPUTE_PGM_RSRC2:SCRATCH_EN: 0
; COMPUTE_PGM_RSRC2:USER_SGPR: 15
; COMPUTE_PGM_RSRC2:TRAP_HANDLER: 0
; COMPUTE_PGM_RSRC2:TGID_X_EN: 1
; COMPUTE_PGM_RSRC2:TGID_Y_EN: 0
; COMPUTE_PGM_RSRC2:TGID_Z_EN: 0
; COMPUTE_PGM_RSRC2:TIDIG_COMP_CNT: 0
	.section	.text._Z18kQuantizeBlockwiseI12hip_bfloat16Li4096ELi4ELi0ELi0EEvPfPT_S1_PhS1_ii,"axG",@progbits,_Z18kQuantizeBlockwiseI12hip_bfloat16Li4096ELi4ELi0ELi0EEvPfPT_S1_PhS1_ii,comdat
